;; amdgpu-corpus repo=ROCm/rocFFT kind=compiled arch=gfx1030 opt=O3
	.text
	.amdgcn_target "amdgcn-amd-amdhsa--gfx1030"
	.amdhsa_code_object_version 6
	.protected	fft_rtc_fwd_len168_factors_2_7_6_2_wgs_168_tpt_14_halfLds_dim3_dp_op_CI_CI_sbcc_twdbase6_3step_dirReg_intrinsicReadWrite ; -- Begin function fft_rtc_fwd_len168_factors_2_7_6_2_wgs_168_tpt_14_halfLds_dim3_dp_op_CI_CI_sbcc_twdbase6_3step_dirReg_intrinsicReadWrite
	.globl	fft_rtc_fwd_len168_factors_2_7_6_2_wgs_168_tpt_14_halfLds_dim3_dp_op_CI_CI_sbcc_twdbase6_3step_dirReg_intrinsicReadWrite
	.p2align	8
	.type	fft_rtc_fwd_len168_factors_2_7_6_2_wgs_168_tpt_14_halfLds_dim3_dp_op_CI_CI_sbcc_twdbase6_3step_dirReg_intrinsicReadWrite,@function
fft_rtc_fwd_len168_factors_2_7_6_2_wgs_168_tpt_14_halfLds_dim3_dp_op_CI_CI_sbcc_twdbase6_3step_dirReg_intrinsicReadWrite: ; @fft_rtc_fwd_len168_factors_2_7_6_2_wgs_168_tpt_14_halfLds_dim3_dp_op_CI_CI_sbcc_twdbase6_3step_dirReg_intrinsicReadWrite
; %bb.0:
	s_clause 0x3
	s_load_dwordx2 s[16:17], s[4:5], 0x0
	s_load_dwordx4 s[8:11], s[4:5], 0x10
	s_load_dwordx4 s[12:15], s[4:5], 0x58
	s_load_dwordx2 s[22:23], s[4:5], 0x20
	s_mov_b32 s1, exec_lo
	v_cmpx_gt_u32_e32 0xc0, v0
	s_cbranch_execz .LBB0_3
; %bb.1:
	s_load_dwordx2 s[2:3], s[4:5], 0x8
	v_lshlrev_b32_e32 v5, 4, v0
	v_add_co_u32 v1, s0, 0xffffff58, v0
	v_add_co_ci_u32_e64 v2, null, 0, -1, s0
	s_waitcnt lgkmcnt(0)
	v_add_co_u32 v3, s0, s2, v5
	v_add_co_ci_u32_e64 v4, null, s3, 0, s0
	v_add3_u32 v5, v5, 0, 0x3f00
	s_mov_b32 s2, 0
	.p2align	6
.LBB0_2:                                ; =>This Inner Loop Header: Depth=1
	global_load_dwordx4 v[6:9], v[3:4], off
	v_add_co_u32 v1, vcc_lo, 0xa8, v1
	v_add_co_ci_u32_e32 v2, vcc_lo, 0, v2, vcc_lo
	v_add_co_u32 v3, vcc_lo, 0xa80, v3
	v_add_co_ci_u32_e32 v4, vcc_lo, 0, v4, vcc_lo
	v_cmp_lt_u64_e64 s0, 23, v[1:2]
	s_or_b32 s2, s0, s2
	s_waitcnt vmcnt(0)
	ds_write2_b64 v5, v[6:7], v[8:9] offset1:1
	v_add_nc_u32_e32 v5, 0xa80, v5
	s_andn2_b32 exec_lo, exec_lo, s2
	s_cbranch_execnz .LBB0_2
.LBB0_3:
	s_or_b32 exec_lo, exec_lo, s1
	s_waitcnt lgkmcnt(0)
	s_load_dwordx2 s[4:5], s[8:9], 0x8
	s_mov_b64 s[26:27], 0
	s_waitcnt lgkmcnt(0)
	s_add_u32 s0, s4, -1
	s_addc_u32 s1, s5, -1
	s_add_u32 s2, 0, 0x55540000
	s_addc_u32 s3, 0, 0x55
	s_mul_hi_u32 s18, s2, -12
	s_add_i32 s3, s3, 0x15555500
	s_sub_i32 s18, s18, s2
	s_mul_i32 s20, s3, -12
	s_mul_i32 s7, s2, -12
	s_add_i32 s18, s18, s20
	s_mul_hi_u32 s19, s2, s7
	s_mul_i32 s24, s2, s18
	s_mul_hi_u32 s20, s2, s18
	s_mul_hi_u32 s21, s3, s7
	s_mul_i32 s7, s3, s7
	s_add_u32 s19, s19, s24
	s_addc_u32 s20, 0, s20
	s_mul_hi_u32 s25, s3, s18
	s_add_u32 s7, s19, s7
	s_mul_i32 s18, s3, s18
	s_addc_u32 s7, s20, s21
	s_addc_u32 s19, s25, 0
	s_add_u32 s7, s7, s18
	v_add_co_u32 v1, s2, s2, s7
	s_addc_u32 s7, 0, s19
	s_cmp_lg_u32 s2, 0
	s_addc_u32 s2, s3, s7
	v_readfirstlane_b32 s3, v1
	s_mul_i32 s18, s0, s2
	s_mul_hi_u32 s7, s0, s2
	s_mul_hi_u32 s19, s1, s2
	s_mul_i32 s2, s1, s2
	s_mul_hi_u32 s20, s0, s3
	s_mul_hi_u32 s21, s1, s3
	s_mul_i32 s3, s1, s3
	s_add_u32 s18, s20, s18
	s_addc_u32 s7, 0, s7
	s_add_u32 s3, s18, s3
	s_addc_u32 s3, s7, s21
	s_addc_u32 s7, s19, 0
	s_add_u32 s2, s3, s2
	s_addc_u32 s3, 0, s7
	s_mul_i32 s18, s2, 12
	s_add_u32 s7, s2, 1
	v_sub_co_u32 v1, s0, s0, s18
	s_mul_hi_u32 s18, s2, 12
	s_addc_u32 s19, s3, 0
	s_mul_i32 s20, s3, 12
	v_sub_co_u32 v2, s21, v1, 12
	s_add_u32 s24, s2, 2
	s_addc_u32 s25, s3, 0
	s_add_i32 s18, s18, s20
	s_cmp_lg_u32 s0, 0
	v_readfirstlane_b32 s0, v2
	s_subb_u32 s1, s1, s18
	s_cmp_lg_u32 s21, 0
	s_subb_u32 s18, s1, 0
	s_cmp_gt_u32 s0, 11
	s_cselect_b32 s0, -1, 0
	s_cmp_eq_u32 s18, 0
	v_readfirstlane_b32 s18, v1
	s_cselect_b32 s0, s0, -1
	s_cmp_lg_u32 s0, 0
	s_cselect_b32 s0, s24, s7
	s_cselect_b32 s19, s25, s19
	s_cmp_gt_u32 s18, 11
	s_cselect_b32 s7, -1, 0
	s_cmp_eq_u32 s1, 0
	s_cselect_b32 s1, s7, -1
	s_mov_b32 s7, 0
	s_cmp_lg_u32 s1, 0
	s_cselect_b32 s0, s0, s2
	s_cselect_b32 s1, s19, s3
	s_add_u32 s24, s0, 1
	s_addc_u32 s25, s1, 0
	v_cmp_lt_u64_e64 s0, s[6:7], s[24:25]
	s_and_b32 vcc_lo, exec_lo, s0
	s_cbranch_vccnz .LBB0_5
; %bb.4:
	v_cvt_f32_u32_e32 v1, s24
	s_sub_i32 s1, 0, s24
	s_mov_b32 s27, s7
	v_rcp_iflag_f32_e32 v1, v1
	v_mul_f32_e32 v1, 0x4f7ffffe, v1
	v_cvt_u32_f32_e32 v1, v1
	v_readfirstlane_b32 s0, v1
	s_mul_i32 s1, s1, s0
	s_mul_hi_u32 s1, s0, s1
	s_add_i32 s0, s0, s1
	s_mul_hi_u32 s0, s6, s0
	s_mul_i32 s1, s0, s24
	s_add_i32 s2, s0, 1
	s_sub_i32 s1, s6, s1
	s_sub_i32 s3, s1, s24
	s_cmp_ge_u32 s1, s24
	s_cselect_b32 s0, s2, s0
	s_cselect_b32 s1, s3, s1
	s_add_i32 s2, s0, 1
	s_cmp_ge_u32 s1, s24
	s_cselect_b32 s26, s2, s0
.LBB0_5:
	s_load_dwordx2 s[20:21], s[8:9], 0x10
	s_load_dwordx4 s[0:3], s[10:11], 0x0
	s_mov_b64 s[18:19], s[26:27]
	s_waitcnt lgkmcnt(0)
	v_cmp_lt_u64_e64 s1, s[26:27], s[20:21]
	s_and_b32 vcc_lo, exec_lo, s1
	s_cbranch_vccnz .LBB0_7
; %bb.6:
	v_cvt_f32_u32_e32 v1, s20
	s_sub_i32 s3, 0, s20
	v_rcp_iflag_f32_e32 v1, v1
	v_mul_f32_e32 v1, 0x4f7ffffe, v1
	v_cvt_u32_f32_e32 v1, v1
	v_readfirstlane_b32 s1, v1
	s_mul_i32 s3, s3, s1
	s_mul_hi_u32 s3, s1, s3
	s_add_i32 s1, s1, s3
	s_mul_hi_u32 s1, s26, s1
	s_mul_i32 s1, s1, s20
	s_sub_i32 s1, s26, s1
	s_sub_i32 s3, s1, s20
	s_cmp_ge_u32 s1, s20
	s_cselect_b32 s1, s3, s1
	s_sub_i32 s3, s1, s20
	s_cmp_ge_u32 s1, s20
	s_cselect_b32 s18, s3, s1
.LBB0_7:
	s_load_dwordx2 s[8:9], s[10:11], 0x10
	s_mul_i32 s1, s20, s25
	s_mul_hi_u32 s3, s20, s24
	s_mul_i32 s28, s20, s24
	s_add_i32 s1, s3, s1
	s_mul_i32 s3, s21, s24
	s_mov_b64 s[20:21], 0
	s_add_i32 s29, s1, s3
	v_cmp_lt_u64_e64 s1, s[6:7], s[28:29]
	s_and_b32 vcc_lo, exec_lo, s1
	s_cbranch_vccnz .LBB0_9
; %bb.8:
	v_cvt_f32_u32_e32 v1, s28
	s_sub_i32 s3, 0, s28
	v_rcp_iflag_f32_e32 v1, v1
	v_mul_f32_e32 v1, 0x4f7ffffe, v1
	v_cvt_u32_f32_e32 v1, v1
	v_readfirstlane_b32 s1, v1
	s_mul_i32 s3, s3, s1
	s_mul_hi_u32 s3, s1, s3
	s_add_i32 s1, s1, s3
	s_mul_hi_u32 s1, s6, s1
	s_mul_i32 s3, s1, s28
	s_add_i32 s7, s1, 1
	s_sub_i32 s3, s6, s3
	s_waitcnt lgkmcnt(0)
	s_sub_i32 s9, s3, s28
	s_cmp_ge_u32 s3, s28
	s_cselect_b32 s1, s7, s1
	s_cselect_b32 s3, s9, s3
	s_add_i32 s7, s1, 1
	s_cmp_ge_u32 s3, s28
	s_cselect_b32 s20, s7, s1
.LBB0_9:
	s_load_dword s3, s[10:11], 0x18
	v_mul_hi_u32 v65, 0x15555556, v0
	s_mul_i32 s1, s26, s25
	s_mul_hi_u32 s7, s26, s24
	s_waitcnt lgkmcnt(0)
	s_mul_i32 s9, s26, s24
	s_add_i32 s7, s7, s1
	s_sub_u32 s1, s6, s9
	s_subb_u32 s6, 0, s7
	s_mul_hi_u32 s7, s1, 12
	v_mul_u32_u24_e32 v1, 12, v65
	s_mul_i32 s1, s1, 12
	s_mul_i32 s6, s6, 12
	;; [unrolled: 1-line block ×4, first 2 shown]
	v_sub_nc_u32_e32 v68, v0, v1
	v_add_nc_u32_e32 v71, 0x54, v65
	s_add_i32 s7, s7, s6
	s_add_i32 s8, s8, s9
	v_mul_lo_u32 v2, s0, v65
	v_add_co_u32 v49, s6, s1, v68
	s_mul_i32 s3, s3, s20
	v_add_co_ci_u32_e64 v50, null, s7, 0, s6
	v_mul_lo_u32 v25, s2, v68
	s_add_i32 s6, s3, s8
	s_add_u32 s2, s1, 12
	v_mul_lo_u32 v9, s0, v71
	s_addc_u32 s3, s7, 0
	v_cmp_gt_u64_e32 vcc_lo, s[4:5], v[49:50]
	v_cmp_le_u64_e64 s2, s[2:3], s[4:5]
	v_add_nc_u32_e32 v66, 14, v65
	v_add_nc_u32_e32 v1, 0x62, v65
	v_add_lshl_u32 v2, v25, v2, 4
	v_add_nc_u32_e32 v70, 28, v65
	v_add_nc_u32_e32 v4, 0x70, v65
	v_add_lshl_u32 v18, v25, v9, 4
	s_or_b32 vcc_lo, s2, vcc_lo
	v_add_nc_u32_e32 v19, 0x7e, v65
	v_mul_lo_u32 v3, s0, v66
	v_add_nc_u32_e32 v69, 42, v65
	v_mul_lo_u32 v1, s0, v1
	v_cndmask_b32_e32 v17, -1, v2, vcc_lo
	v_mul_lo_u32 v2, s0, v70
	v_mul_lo_u32 v4, s0, v4
	v_add_nc_u32_e32 v64, 56, v65
	v_cndmask_b32_e32 v21, -1, v18, vcc_lo
	v_add_nc_u32_e32 v18, 0x8c, v65
	v_mul_lo_u32 v26, s0, v19
	v_add_nc_u32_e32 v67, 0x46, v65
	v_add_nc_u32_e32 v19, 0x9a, v65
	v_mul_lo_u32 v20, s0, v69
	v_mul_lo_u32 v28, s0, v64
	v_add_lshl_u32 v3, v25, v3, 4
	v_mul_lo_u32 v29, s0, v18
	v_add_lshl_u32 v1, v25, v1, 4
	v_add_lshl_u32 v10, v25, v2, 4
	v_mul_lo_u32 v30, s0, v67
	v_mul_lo_u32 v31, s0, v19
	v_add_lshl_u32 v11, v25, v4, 4
	v_cndmask_b32_e32 v3, -1, v3, vcc_lo
	v_add_lshl_u32 v27, v25, v20, 4
	v_cndmask_b32_e32 v5, -1, v1, vcc_lo
	v_cndmask_b32_e32 v10, -1, v10, vcc_lo
	v_add_lshl_u32 v26, v25, v26, 4
	v_cndmask_b32_e32 v13, -1, v11, vcc_lo
	v_add_lshl_u32 v28, v25, v28, 4
	s_lshl_b32 s3, s6, 4
	s_mov_b32 s7, 0x31014000
	s_mov_b32 s6, -2
	s_mov_b32 s4, s12
	s_mov_b32 s5, s13
	v_add_lshl_u32 v29, v25, v29, 4
	v_add_lshl_u32 v30, v25, v30, 4
	;; [unrolled: 1-line block ×3, first 2 shown]
	s_clause 0x1
	buffer_load_dwordx4 v[1:4], v3, s[4:7], s3 offen
	buffer_load_dwordx4 v[5:8], v5, s[4:7], s3 offen
	v_cndmask_b32_e32 v27, -1, v27, vcc_lo
	s_clause 0x1
	buffer_load_dwordx4 v[9:12], v10, s[4:7], s3 offen
	buffer_load_dwordx4 v[13:16], v13, s[4:7], s3 offen
	v_cndmask_b32_e32 v31, -1, v26, vcc_lo
	;; [unrolled: 4-line block ×3, first 2 shown]
	v_cndmask_b32_e32 v33, -1, v29, vcc_lo
	v_cndmask_b32_e32 v34, -1, v30, vcc_lo
	v_cndmask_b32_e32 v45, -1, v25, vcc_lo
	s_clause 0x5
	buffer_load_dwordx4 v[25:28], v27, s[4:7], s3 offen
	buffer_load_dwordx4 v[37:40], v31, s[4:7], s3 offen
	buffer_load_dwordx4 v[29:32], v32, s[4:7], s3 offen
	buffer_load_dwordx4 v[41:44], v33, s[4:7], s3 offen
	buffer_load_dwordx4 v[33:36], v34, s[4:7], s3 offen
	buffer_load_dwordx4 v[45:48], v45, s[4:7], s3 offen
	s_load_dwordx8 s[4:11], s[22:23], 0x0
	v_cmp_gt_u32_e64 s0, 0x78, v0
                                        ; implicit-def: $vgpr58_vgpr59
	s_waitcnt vmcnt(10)
	v_add_f64 v[52:53], v[1:2], -v[5:6]
	s_waitcnt vmcnt(8)
	v_add_f64 v[13:14], v[9:10], -v[13:14]
	;; [unrolled: 2-line block ×6, first 2 shown]
	v_fma_f64 v[37:38], v[1:2], 2.0, -v[52:53]
	v_mad_u32_u24 v1, 0xc0, v65, 0
	v_fma_f64 v[9:10], v[9:10], 2.0, -v[13:14]
	v_lshlrev_b32_e32 v2, 3, v68
	v_fma_f64 v[41:42], v[17:18], 2.0, -v[54:55]
	v_fma_f64 v[25:26], v[25:26], 2.0, -v[5:6]
	v_mad_i32_i24 v56, 0xffffffa0, v65, v1
	v_fma_f64 v[17:18], v[29:30], 2.0, -v[21:22]
	v_add_nc_u32_e32 v1, v1, v2
	v_fma_f64 v[45:46], v[33:34], 2.0, -v[50:51]
	v_add_nc_u32_e32 v72, v56, v2
	v_lshl_add_u32 v73, v68, 3, v56
	v_add_nc_u32_e32 v2, 0x800, v1
	v_add_nc_u32_e32 v29, 0x1000, v1
	;; [unrolled: 1-line block ×5, first 2 shown]
	ds_write2_b64 v2, v[37:38], v[52:53] offset0:80 offset1:92
	ds_write2_b64 v29, v[9:10], v[13:14] offset0:160 offset1:172
	ds_write2_b64 v1, v[41:42], v[54:55] offset1:12
	ds_write2_b64 v30, v[25:26], v[5:6] offset0:240 offset1:252
	ds_write2_b64 v33, v[17:18], v[21:22] offset0:64 offset1:76
	;; [unrolled: 1-line block ×3, first 2 shown]
	s_waitcnt lgkmcnt(0)
	s_barrier
	buffer_gl0_inv
	ds_read_b64 v[9:10], v72
	ds_read_b64 v[62:63], v72 offset:2304
	ds_read_b64 v[25:26], v72 offset:4608
	;; [unrolled: 1-line block ×6, first 2 shown]
	v_add_nc_u32_e32 v2, 0xa80, v1
	v_add_nc_u32_e32 v54, 0x1500, v1
	;; [unrolled: 1-line block ×5, first 2 shown]
                                        ; implicit-def: $vgpr41_vgpr42
	s_and_saveexec_b32 s2, s0
	s_cbranch_execz .LBB0_11
; %bb.10:
	ds_read_b64 v[17:18], v72 offset:3648
	ds_read_b64 v[21:22], v72 offset:5952
	;; [unrolled: 1-line block ×7, first 2 shown]
.LBB0_11:
	s_or_b32 exec_lo, exec_lo, s2
	v_add_f64 v[60:61], v[19:20], -v[23:24]
	v_add_f64 v[7:8], v[3:4], -v[7:8]
	;; [unrolled: 1-line block ×6, first 2 shown]
	s_waitcnt lgkmcnt(0)
	s_barrier
	buffer_gl0_inv
	v_fma_f64 v[19:20], v[19:20], 2.0, -v[60:61]
	v_fma_f64 v[3:4], v[3:4], 2.0, -v[7:8]
	;; [unrolled: 1-line block ×6, first 2 shown]
	ds_write2_b64 v1, v[19:20], v[60:61] offset1:12
	ds_write2_b64 v2, v[3:4], v[7:8] offset1:12
	;; [unrolled: 1-line block ×6, first 2 shown]
	s_waitcnt lgkmcnt(0)
	s_barrier
	buffer_gl0_inv
	ds_read_b64 v[1:2], v72
	ds_read_b64 v[7:8], v72 offset:2304
	ds_read_b64 v[19:20], v72 offset:4608
	;; [unrolled: 1-line block ×6, first 2 shown]
                                        ; implicit-def: $vgpr56_vgpr57
                                        ; implicit-def: $vgpr39_vgpr40
	s_and_saveexec_b32 s2, s0
	s_cbranch_execz .LBB0_13
; %bb.12:
	ds_read_b64 v[11:12], v72 offset:3648
	ds_read_b64 v[23:24], v72 offset:5952
	;; [unrolled: 1-line block ×7, first 2 shown]
.LBB0_13:
	s_or_b32 exec_lo, exec_lo, s2
	v_and_b32_e32 v73, 1, v65
	s_mov_b32 s24, 0xe976ee23
	s_mov_b32 s2, 0x429ad128
	;; [unrolled: 1-line block ×4, first 2 shown]
	v_mul_u32_u24_e32 v3, 6, v73
	s_mov_b32 s22, 0xb247c609
	s_mov_b32 s36, 0x37e14327
	;; [unrolled: 1-line block ×4, first 2 shown]
	v_lshlrev_b32_e32 v86, 4, v3
	s_mov_b32 s13, 0xbfd5d0dc
	s_mov_b32 s12, s22
	;; [unrolled: 1-line block ×4, first 2 shown]
	s_clause 0x2
	global_load_dwordx4 v[74:77], v86, s[16:17]
	global_load_dwordx4 v[78:81], v86, s[16:17] offset:16
	global_load_dwordx4 v[82:85], v86, s[16:17] offset:32
	s_mov_b32 s26, 0x5476071b
	s_mov_b32 s38, 0xaaaaaaaa
	;; [unrolled: 1-line block ×8, first 2 shown]
	s_waitcnt vmcnt(2)
	v_mul_f64 v[15:16], v[62:63], v[76:77]
	s_waitcnt lgkmcnt(5)
	v_mul_f64 v[3:4], v[7:8], v[76:77]
	s_waitcnt vmcnt(1)
	v_mul_f64 v[43:44], v[25:26], v[80:81]
	v_fma_f64 v[7:8], v[7:8], v[74:75], v[15:16]
	v_mul_f64 v[15:16], v[11:12], v[76:77]
	v_fma_f64 v[3:4], v[62:63], v[74:75], -v[3:4]
	s_waitcnt vmcnt(0) lgkmcnt(4)
	v_mul_f64 v[62:63], v[27:28], v[84:85]
	v_fma_f64 v[15:16], v[17:18], v[74:75], -v[15:16]
	v_mul_f64 v[17:18], v[17:18], v[76:77]
	v_fma_f64 v[17:18], v[11:12], v[74:75], v[17:18]
	v_mul_f64 v[11:12], v[19:20], v[80:81]
	global_load_dwordx4 v[74:77], v86, s[16:17] offset:48
	v_fma_f64 v[11:12], v[25:26], v[78:79], -v[11:12]
	v_fma_f64 v[25:26], v[19:20], v[78:79], v[43:44]
	v_mul_f64 v[19:20], v[23:24], v[80:81]
	v_mul_f64 v[43:44], v[29:30], v[84:85]
	v_fma_f64 v[19:20], v[21:22], v[78:79], -v[19:20]
	v_mul_f64 v[21:22], v[21:22], v[80:81]
	v_fma_f64 v[21:22], v[23:24], v[78:79], v[21:22]
	global_load_dwordx4 v[78:81], v86, s[16:17] offset:64
	s_waitcnt lgkmcnt(3)
	v_mul_f64 v[23:24], v[31:32], v[84:85]
	v_mul_f64 v[84:85], v[45:46], v[84:85]
	v_fma_f64 v[31:32], v[31:32], v[82:83], v[43:44]
	v_fma_f64 v[29:30], v[29:30], v[82:83], -v[23:24]
	v_fma_f64 v[23:24], v[45:46], v[82:83], -v[62:63]
	v_fma_f64 v[27:28], v[27:28], v[82:83], v[84:85]
	global_load_dwordx4 v[82:85], v86, s[16:17] offset:80
	s_waitcnt vmcnt(0) lgkmcnt(0)
	s_barrier
	buffer_gl0_inv
	v_mul_f64 v[43:44], v[35:36], v[76:77]
	v_fma_f64 v[43:44], v[33:34], v[74:75], -v[43:44]
	v_mul_f64 v[33:34], v[33:34], v[76:77]
	v_fma_f64 v[45:46], v[35:36], v[74:75], v[33:34]
	v_mul_f64 v[33:34], v[47:48], v[76:77]
	v_mul_f64 v[35:36], v[50:51], v[76:77]
	v_fma_f64 v[33:34], v[50:51], v[74:75], -v[33:34]
	v_fma_f64 v[35:36], v[47:48], v[74:75], v[35:36]
	v_mul_f64 v[47:48], v[60:61], v[80:81]
	v_mul_f64 v[50:51], v[52:53], v[80:81]
	;; [unrolled: 1-line block ×3, first 2 shown]
	v_fma_f64 v[47:48], v[52:53], v[78:79], -v[47:48]
	v_fma_f64 v[52:53], v[60:61], v[78:79], v[50:51]
	v_mul_f64 v[60:61], v[58:59], v[80:81]
	v_mul_f64 v[62:63], v[54:55], v[84:85]
	v_add_f64 v[76:77], v[11:12], v[47:48]
	v_fma_f64 v[39:40], v[39:40], v[78:79], v[60:61]
	v_fma_f64 v[50:51], v[37:38], v[82:83], -v[62:63]
	v_mul_f64 v[62:63], v[37:38], v[84:85]
	v_fma_f64 v[37:38], v[58:59], v[78:79], -v[74:75]
	v_mul_f64 v[74:75], v[56:57], v[84:85]
	v_mul_f64 v[78:79], v[41:42], v[84:85]
	v_add_f64 v[60:61], v[3:4], v[50:51]
	v_fma_f64 v[58:59], v[54:55], v[82:83], v[62:63]
	v_add_f64 v[62:63], v[29:30], v[43:44]
	v_fma_f64 v[41:42], v[41:42], v[82:83], -v[74:75]
	v_fma_f64 v[54:55], v[56:57], v[82:83], v[78:79]
	v_add_f64 v[56:57], v[25:26], -v[52:53]
	v_add_f64 v[78:79], v[45:46], -v[31:32]
	v_add_f64 v[74:75], v[76:77], v[60:61]
	v_add_f64 v[80:81], v[76:77], -v[60:61]
	v_add_f64 v[60:61], v[60:61], -v[62:63]
	;; [unrolled: 1-line block ×3, first 2 shown]
	v_add_f64 v[82:83], v[78:79], v[56:57]
	v_add_f64 v[84:85], v[78:79], -v[56:57]
	v_add_f64 v[62:63], v[62:63], v[74:75]
	v_add_f64 v[74:75], v[7:8], -v[58:59]
	v_mul_f64 v[60:61], v[60:61], s[36:37]
	v_add_f64 v[9:10], v[9:10], v[62:63]
	v_add_f64 v[56:57], v[56:57], -v[74:75]
	v_add_f64 v[78:79], v[74:75], -v[78:79]
	v_add_f64 v[74:75], v[82:83], v[74:75]
	v_mul_f64 v[82:83], v[84:85], s[24:25]
	v_fma_f64 v[62:63], v[62:63], s[38:39], v[9:10]
	v_mul_f64 v[84:85], v[56:57], s[2:3]
	v_fma_f64 v[56:57], v[56:57], s[2:3], -v[82:83]
	v_fma_f64 v[82:83], v[78:79], s[22:23], v[82:83]
	v_fma_f64 v[78:79], v[78:79], s[12:13], -v[84:85]
	v_mul_f64 v[84:85], v[76:77], s[30:31]
	v_fma_f64 v[56:57], v[74:75], s[34:35], v[56:57]
	v_fma_f64 v[84:85], v[80:81], s[26:27], -v[84:85]
	v_fma_f64 v[80:81], v[80:81], s[28:29], -v[60:61]
	v_fma_f64 v[60:61], v[76:77], s[30:31], v[60:61]
	v_fma_f64 v[76:77], v[74:75], s[34:35], v[78:79]
	;; [unrolled: 1-line block ×3, first 2 shown]
	v_add_f64 v[78:79], v[84:85], v[62:63]
	v_add_f64 v[80:81], v[80:81], v[62:63]
	;; [unrolled: 1-line block ×3, first 2 shown]
	v_lshrrev_b32_e32 v84, 1, v65
	v_add_f64 v[62:63], v[78:79], -v[56:57]
	v_add_f64 v[82:83], v[76:77], v[80:81]
	v_add_f64 v[76:77], v[80:81], -v[76:77]
	v_add_f64 v[80:81], v[74:75], v[60:61]
	v_add_f64 v[78:79], v[56:57], v[78:79]
	v_mul_u32_u24_e32 v56, 14, v84
	v_add_f64 v[74:75], v[60:61], -v[74:75]
	v_or_b32_e32 v57, v56, v73
	v_lshlrev_b32_e32 v56, 3, v68
	v_mul_u32_u24_e32 v57, 0x60, v57
	v_add3_u32 v60, 0, v57, v56
	v_lshrrev_b32_e32 v57, 1, v66
	ds_write2_b64 v60, v[9:10], v[80:81] offset1:24
	ds_write2_b64 v60, v[82:83], v[62:63] offset0:48 offset1:72
	ds_write2_b64 v60, v[78:79], v[76:77] offset0:96 offset1:120
	ds_write_b64 v60, v[74:75] offset:1152
	s_and_saveexec_b32 s5, s0
	s_cbranch_execz .LBB0_15
; %bb.14:
	v_add_f64 v[9:10], v[19:20], v[37:38]
	v_add_f64 v[61:62], v[15:16], v[41:42]
	v_add_f64 v[74:75], v[35:36], -v[27:28]
	v_add_f64 v[76:77], v[21:22], -v[39:40]
	v_add_f64 v[78:79], v[23:24], v[33:34]
	v_add_f64 v[80:81], v[17:18], -v[54:55]
	v_mul_u32_u24_e32 v63, 14, v57
	v_or_b32_e32 v63, v63, v73
	v_mul_u32_u24_e32 v63, 0x60, v63
	v_add3_u32 v63, 0, v63, v56
	v_add_f64 v[82:83], v[9:10], v[61:62]
	v_add_f64 v[84:85], v[74:75], -v[76:77]
	v_add_f64 v[86:87], v[61:62], -v[78:79]
	;; [unrolled: 1-line block ×3, first 2 shown]
	v_add_f64 v[76:77], v[74:75], v[76:77]
	v_add_f64 v[74:75], v[80:81], -v[74:75]
	v_add_f64 v[82:83], v[78:79], v[82:83]
	v_add_f64 v[78:79], v[78:79], -v[9:10]
	v_add_f64 v[9:10], v[9:10], -v[61:62]
	v_mul_f64 v[61:62], v[84:85], s[24:25]
	v_mul_f64 v[84:85], v[86:87], s[36:37]
	v_mul_f64 v[86:87], v[88:89], s[2:3]
	v_add_f64 v[76:77], v[76:77], v[80:81]
	v_add_f64 v[5:6], v[5:6], v[82:83]
	v_mul_f64 v[90:91], v[78:79], s[30:31]
	v_fma_f64 v[80:81], v[74:75], s[22:23], v[61:62]
	v_fma_f64 v[78:79], v[78:79], s[30:31], v[84:85]
	v_fma_f64 v[92:93], v[9:10], s[28:29], -v[84:85]
	v_fma_f64 v[74:75], v[74:75], s[12:13], -v[86:87]
	;; [unrolled: 1-line block ×3, first 2 shown]
	v_fma_f64 v[82:83], v[82:83], s[38:39], v[5:6]
	v_fma_f64 v[9:10], v[9:10], s[26:27], -v[90:91]
	v_fma_f64 v[80:81], v[76:77], s[34:35], v[80:81]
	v_fma_f64 v[74:75], v[76:77], s[34:35], v[74:75]
	;; [unrolled: 1-line block ×3, first 2 shown]
	v_add_f64 v[78:79], v[78:79], v[82:83]
	v_add_f64 v[76:77], v[92:93], v[82:83]
	;; [unrolled: 1-line block ×4, first 2 shown]
	v_add_f64 v[82:83], v[76:77], -v[74:75]
	v_add_f64 v[84:85], v[9:10], -v[61:62]
	v_add_f64 v[74:75], v[74:75], v[76:77]
	v_add_f64 v[9:10], v[61:62], v[9:10]
	v_add_f64 v[61:62], v[78:79], -v[80:81]
	ds_write2_b64 v63, v[5:6], v[86:87] offset1:24
	ds_write2_b64 v63, v[74:75], v[84:85] offset0:48 offset1:72
	ds_write2_b64 v63, v[9:10], v[82:83] offset0:96 offset1:120
	ds_write_b64 v63, v[61:62] offset:1152
.LBB0_15:
	s_or_b32 exec_lo, exec_lo, s5
	v_add_f64 v[5:6], v[7:8], v[58:59]
	v_add_f64 v[7:8], v[25:26], v[52:53]
	v_add_f64 v[9:10], v[11:12], -v[47:48]
	v_add_f64 v[11:12], v[31:32], v[45:46]
	v_add_f64 v[25:26], v[43:44], -v[29:30]
	v_add_f64 v[3:4], v[3:4], -v[50:51]
	v_add_nc_u32_e32 v53, 0x1800, v72
	v_add_nc_u32_e32 v58, 0x2400, v72
	;; [unrolled: 1-line block ×3, first 2 shown]
	s_waitcnt lgkmcnt(0)
	s_barrier
	buffer_gl0_inv
	v_add_f64 v[29:30], v[7:8], v[5:6]
	v_add_f64 v[31:32], v[5:6], -v[11:12]
	v_add_f64 v[43:44], v[25:26], -v[9:10]
	;; [unrolled: 1-line block ×3, first 2 shown]
	v_add_f64 v[9:10], v[25:26], v[9:10]
	v_add_f64 v[25:26], v[3:4], -v[25:26]
	v_add_f64 v[29:30], v[11:12], v[29:30]
	v_add_f64 v[11:12], v[11:12], -v[7:8]
	v_mul_f64 v[31:32], v[31:32], s[36:37]
	v_mul_f64 v[43:44], v[43:44], s[24:25]
	;; [unrolled: 1-line block ×3, first 2 shown]
	v_add_f64 v[3:4], v[9:10], v[3:4]
	v_add_f64 v[61:62], v[1:2], v[29:30]
	v_add_f64 v[1:2], v[7:8], -v[5:6]
	v_mul_f64 v[5:6], v[11:12], s[30:31]
	v_fma_f64 v[7:8], v[11:12], s[30:31], v[31:32]
	v_fma_f64 v[9:10], v[25:26], s[22:23], v[43:44]
	v_fma_f64 v[11:12], v[45:46], s[2:3], -v[43:44]
	v_fma_f64 v[25:26], v[25:26], s[12:13], -v[47:48]
	v_fma_f64 v[29:30], v[29:30], s[38:39], v[61:62]
	v_fma_f64 v[31:32], v[1:2], s[28:29], -v[31:32]
	v_fma_f64 v[1:2], v[1:2], s[26:27], -v[5:6]
	v_fma_f64 v[45:46], v[3:4], s[34:35], v[9:10]
	v_fma_f64 v[47:48], v[3:4], s[34:35], v[11:12]
	;; [unrolled: 1-line block ×3, first 2 shown]
	v_add_f64 v[74:75], v[7:8], v[29:30]
	v_add_f64 v[31:32], v[31:32], v[29:30]
	;; [unrolled: 1-line block ×3, first 2 shown]
	v_mul_u32_u24_e32 v1, 0x60, v70
	v_add3_u32 v50, 0, v1, v56
	ds_read_b64 v[29:30], v72
	ds_read_b64 v[43:44], v72 offset:4032
	ds_read2_b64 v[9:12], v53 offset0:72 offset1:240
	ds_read2_b64 v[5:8], v58 offset0:24 offset1:192
	;; [unrolled: 1-line block ×3, first 2 shown]
	v_add_nc_u32_e32 v51, 0xfffffac0, v50
	v_add_nc_u32_e32 v52, 0xa80, v50
	v_add_f64 v[78:79], v[74:75], -v[45:46]
	v_add_f64 v[80:81], v[31:32], -v[25:26]
	v_add_f64 v[82:83], v[47:48], v[76:77]
	v_add_f64 v[76:77], v[76:77], -v[47:48]
	v_add_f64 v[84:85], v[25:26], v[31:32]
	v_add_f64 v[74:75], v[45:46], v[74:75]
	ds_read_b64 v[47:48], v50
	ds_read_b64 v[31:32], v72 offset:14784
	ds_read_b64 v[45:46], v50 offset:2688
	ds_read_b64 v[25:26], v51
	s_waitcnt lgkmcnt(0)
	s_barrier
	buffer_gl0_inv
	ds_write2_b64 v60, v[61:62], v[78:79] offset1:24
	ds_write2_b64 v60, v[80:81], v[82:83] offset0:48 offset1:72
	ds_write2_b64 v60, v[76:77], v[84:85] offset0:96 offset1:120
	ds_write_b64 v60, v[74:75] offset:1152
	s_and_saveexec_b32 s2, s0
	s_cbranch_execz .LBB0_17
; %bb.16:
	v_add_f64 v[17:18], v[17:18], v[54:55]
	v_add_f64 v[21:22], v[21:22], v[39:40]
	;; [unrolled: 1-line block ×3, first 2 shown]
	v_add_f64 v[19:20], v[19:20], -v[37:38]
	v_add_f64 v[23:24], v[33:34], -v[23:24]
	;; [unrolled: 1-line block ×3, first 2 shown]
	s_mov_b32 s12, 0x37e14327
	s_mov_b32 s13, 0x3fe948f6
	;; [unrolled: 1-line block ×8, first 2 shown]
	v_add_f64 v[33:34], v[21:22], v[17:18]
	v_add_f64 v[35:36], v[17:18], -v[27:28]
	v_add_f64 v[37:38], v[27:28], -v[21:22]
	v_add_f64 v[39:40], v[23:24], -v[19:20]
	v_add_f64 v[41:42], v[19:20], -v[15:16]
	v_add_f64 v[17:18], v[21:22], -v[17:18]
	v_add_f64 v[19:20], v[23:24], v[19:20]
	v_add_f64 v[21:22], v[15:16], -v[23:24]
	v_add_f64 v[27:28], v[27:28], v[33:34]
	v_mul_f64 v[23:24], v[35:36], s[12:13]
	s_mov_b32 s12, 0x429ad128
	v_mul_f64 v[33:34], v[37:38], s[22:23]
	v_mul_f64 v[35:36], v[39:40], s[24:25]
	s_mov_b32 s13, 0x3febfeb5
	s_mov_b32 s24, 0xaaaaaaaa
	v_mul_f64 v[39:40], v[41:42], s[12:13]
	s_mov_b32 s25, 0xbff2aaaa
	v_add_f64 v[15:16], v[19:20], v[15:16]
	v_add_f64 v[13:14], v[13:14], v[27:28]
	v_fma_f64 v[19:20], v[37:38], s[22:23], v[23:24]
	v_fma_f64 v[33:34], v[17:18], s[26:27], -v[33:34]
	s_mov_b32 s27, 0xbfe77f67
	v_fma_f64 v[37:38], v[21:22], s[28:29], v[35:36]
	s_mov_b32 s29, 0xbfd5d0dc
	v_fma_f64 v[35:36], v[41:42], s[12:13], -v[35:36]
	v_fma_f64 v[21:22], v[21:22], s[28:29], -v[39:40]
	;; [unrolled: 1-line block ×3, first 2 shown]
	s_mov_b32 s12, 0x37c3f68c
	s_mov_b32 s13, 0x3fdc38aa
	v_mul_u32_u24_e32 v39, 14, v57
	v_fma_f64 v[27:28], v[27:28], s[24:25], v[13:14]
	v_fma_f64 v[23:24], v[15:16], s[12:13], v[37:38]
	v_fma_f64 v[35:36], v[15:16], s[12:13], v[35:36]
	v_fma_f64 v[15:16], v[15:16], s[12:13], v[21:22]
	v_add_f64 v[19:20], v[19:20], v[27:28]
	v_add_f64 v[17:18], v[17:18], v[27:28]
	;; [unrolled: 1-line block ×3, first 2 shown]
	v_add_f64 v[27:28], v[19:20], -v[23:24]
	v_add_f64 v[33:34], v[17:18], -v[15:16]
	v_add_f64 v[37:38], v[35:36], v[21:22]
	v_add_f64 v[21:22], v[21:22], -v[35:36]
	v_add_f64 v[15:16], v[15:16], v[17:18]
	v_add_f64 v[17:18], v[23:24], v[19:20]
	v_or_b32_e32 v19, v39, v73
	v_mul_u32_u24_e32 v19, 0x60, v19
	v_add3_u32 v19, 0, v19, v56
	ds_write2_b64 v19, v[13:14], v[27:28] offset1:24
	ds_write2_b64 v19, v[33:34], v[37:38] offset0:48 offset1:72
	ds_write2_b64 v19, v[21:22], v[15:16] offset0:96 offset1:120
	ds_write_b64 v19, v[17:18] offset:1152
.LBB0_17:
	s_or_b32 exec_lo, exec_lo, s2
	v_mul_hi_u32 v13, 0x12492493, v65
	s_waitcnt lgkmcnt(0)
	s_barrier
	buffer_gl0_inv
	ds_read_b64 v[27:28], v72
	ds_read_b64 v[22:23], v50
	;; [unrolled: 1-line block ×3, first 2 shown]
	ds_read2_b64 v[14:17], v53 offset0:72 offset1:240
	ds_read2_b64 v[18:21], v58 offset0:24 offset1:192
	;; [unrolled: 1-line block ×3, first 2 shown]
	ds_read_b64 v[53:54], v51
	ds_read_b64 v[61:62], v72 offset:4032
	ds_read_b64 v[81:82], v72 offset:14784
	s_mul_i32 s0, s8, s18
	s_mul_i32 s1, s6, s1
	s_mul_i32 s5, s10, s20
	v_mul_u32_u24_e32 v13, 14, v13
	s_add_i32 s0, s0, s1
	s_mov_b32 s2, 0xe8584caa
	s_add_i32 s5, s5, s0
	s_mov_b32 s3, 0x3febb67a
	v_sub_nc_u32_e32 v13, v65, v13
	s_mov_b32 s1, 0xbfebb67a
	v_mul_hi_u32 v0, 0x1861862, v0
	s_lshl_b32 s5, s5, 4
	v_mul_u32_u24_e32 v24, 5, v13
	v_mad_u32_u24 v0, 0x54, v0, v13
	v_lshlrev_b32_e32 v24, 4, v24
	s_clause 0x3
	global_load_dwordx4 v[37:40], v24, s[16:17] offset:240
	global_load_dwordx4 v[57:60], v24, s[16:17] offset:224
	;; [unrolled: 1-line block ×4, first 2 shown]
	v_mul_i32_i24_e32 v0, 0x60, v0
	v_add3_u32 v13, 0, v0, v56
	s_waitcnt vmcnt(0) lgkmcnt(7)
	v_mul_f64 v[83:84], v[22:23], v[79:80]
	v_fma_f64 v[83:84], v[47:48], v[77:78], -v[83:84]
	v_mul_f64 v[47:48], v[47:48], v[79:80]
	v_fma_f64 v[77:78], v[22:23], v[77:78], v[47:48]
	s_waitcnt lgkmcnt(6)
	v_mul_f64 v[22:23], v[41:42], v[75:76]
	v_fma_f64 v[79:80], v[45:46], v[73:74], -v[22:23]
	v_mul_f64 v[22:23], v[45:46], v[75:76]
	v_fma_f64 v[73:74], v[41:42], v[73:74], v[22:23]
	s_waitcnt lgkmcnt(5)
	;; [unrolled: 5-line block ×3, first 2 shown]
	v_mul_f64 v[16:17], v[20:21], v[39:40]
	v_fma_f64 v[16:17], v[7:8], v[37:38], -v[16:17]
	v_mul_f64 v[7:8], v[7:8], v[39:40]
	v_fma_f64 v[57:58], v[20:21], v[37:38], v[7:8]
	global_load_dwordx4 v[20:23], v24, s[16:17] offset:256
	s_waitcnt vmcnt(0) lgkmcnt(3)
	v_mul_f64 v[7:8], v[35:36], v[22:23]
	v_fma_f64 v[59:60], v[3:4], v[20:21], -v[7:8]
	v_mul_f64 v[3:4], v[3:4], v[22:23]
	v_mov_b32_e32 v8, 0
	v_fma_f64 v[85:86], v[35:36], v[20:21], v[3:4]
	v_mul_hi_u32 v3, 0x12492493, v66
	v_mul_u32_u24_e32 v4, 14, v3
	v_sub_nc_u32_e32 v4, v66, v4
	v_mul_i32_i24_e32 v7, 5, v4
	v_mad_u32_u24 v0, 0x54, v3, v4
	v_lshlrev_b64 v[7:8], 4, v[7:8]
	v_mul_i32_i24_e32 v0, 0x60, v0
	v_add_co_u32 v7, s0, s16, v7
	v_add_co_ci_u32_e64 v8, s0, s17, v8, s0
	s_clause 0x3
	global_load_dwordx4 v[20:23], v[7:8], off offset:240
	global_load_dwordx4 v[35:38], v[7:8], off offset:224
	;; [unrolled: 1-line block ×4, first 2 shown]
	s_mov_b32 s0, s2
	s_waitcnt vmcnt(0) lgkmcnt(1)
	v_mul_f64 v[87:88], v[61:62], v[47:48]
	v_fma_f64 v[87:88], v[43:44], v[45:46], -v[87:88]
	v_mul_f64 v[43:44], v[43:44], v[47:48]
	v_add_f64 v[47:48], v[75:76], -v[59:60]
	v_fma_f64 v[43:44], v[61:62], v[45:46], v[43:44]
	v_mul_f64 v[45:46], v[14:15], v[41:42]
	v_fma_f64 v[45:46], v[9:10], v[39:40], -v[45:46]
	v_mul_f64 v[9:10], v[9:10], v[41:42]
	v_fma_f64 v[9:10], v[14:15], v[39:40], v[9:10]
	v_mul_f64 v[14:15], v[18:19], v[37:38]
	v_add_f64 v[39:40], v[11:12], -v[85:86]
	v_fma_f64 v[14:15], v[5:6], v[35:36], -v[14:15]
	v_mul_f64 v[5:6], v[5:6], v[37:38]
	v_add_f64 v[37:38], v[75:76], v[59:60]
	v_fma_f64 v[18:19], v[18:19], v[35:36], v[5:6]
	v_mul_f64 v[5:6], v[33:34], v[22:23]
	v_fma_f64 v[37:38], v[37:38], -0.5, v[83:84]
	v_fma_f64 v[35:36], v[1:2], v[20:21], -v[5:6]
	global_load_dwordx4 v[5:8], v[7:8], off offset:256
	v_mul_f64 v[1:2], v[1:2], v[22:23]
	v_add_f64 v[22:23], v[79:80], v[16:17]
	v_fma_f64 v[41:42], v[39:40], s[2:3], v[37:38]
	v_fma_f64 v[37:38], v[39:40], s[0:1], v[37:38]
	v_add_f64 v[39:40], v[77:78], v[11:12]
	v_add_f64 v[11:12], v[11:12], v[85:86]
	s_waitcnt vmcnt(0) lgkmcnt(0)
	s_barrier
	buffer_gl0_inv
	v_fma_f64 v[1:2], v[33:34], v[20:21], v[1:2]
	v_fma_f64 v[22:23], v[22:23], -0.5, v[29:30]
	v_add_f64 v[33:34], v[73:74], v[57:58]
	v_add_f64 v[39:40], v[39:40], v[85:86]
	v_fma_f64 v[11:12], v[11:12], -0.5, v[77:78]
	v_mul_f64 v[20:21], v[81:82], v[7:8]
	v_mul_f64 v[7:8], v[31:32], v[7:8]
	v_fma_f64 v[20:21], v[31:32], v[5:6], -v[20:21]
	v_fma_f64 v[5:6], v[81:82], v[5:6], v[7:8]
	v_add_f64 v[7:8], v[29:30], v[79:80]
	v_add_f64 v[29:30], v[73:74], -v[57:58]
	v_add_f64 v[7:8], v[7:8], v[16:17]
	v_fma_f64 v[31:32], v[29:30], s[2:3], v[22:23]
	v_fma_f64 v[22:23], v[29:30], s[0:1], v[22:23]
	v_add_f64 v[29:30], v[27:28], v[73:74]
	v_fma_f64 v[27:28], v[33:34], -0.5, v[27:28]
	v_add_f64 v[16:17], v[79:80], -v[16:17]
	v_mul_f64 v[73:74], v[37:38], -0.5
	v_add_f64 v[29:30], v[29:30], v[57:58]
	v_fma_f64 v[57:58], v[47:48], s[0:1], v[11:12]
	v_fma_f64 v[33:34], v[16:17], s[0:1], v[27:28]
	v_fma_f64 v[16:17], v[16:17], s[2:3], v[27:28]
	v_add_f64 v[27:28], v[83:84], v[75:76]
	v_fma_f64 v[11:12], v[47:48], s[2:3], v[11:12]
	v_add_f64 v[77:78], v[29:30], v[39:40]
	v_add_f64 v[29:30], v[29:30], -v[39:40]
	v_add_f64 v[27:28], v[27:28], v[59:60]
	v_mul_f64 v[59:60], v[57:58], s[2:3]
	v_fma_f64 v[73:74], v[11:12], s[2:3], v[73:74]
	v_mul_f64 v[11:12], v[11:12], -0.5
	v_add_f64 v[47:48], v[7:8], v[27:28]
	v_fma_f64 v[59:60], v[41:42], 0.5, v[59:60]
	v_mul_f64 v[41:42], v[41:42], s[0:1]
	v_fma_f64 v[11:12], v[37:38], s[0:1], v[11:12]
	v_add_f64 v[7:8], v[7:8], -v[27:28]
	v_add_f64 v[75:76], v[22:23], v[73:74]
	v_add_f64 v[22:23], v[22:23], -v[73:74]
	v_add_f64 v[61:62], v[31:32], v[59:60]
	v_fma_f64 v[41:42], v[57:58], 0.5, v[41:42]
	v_add_f64 v[27:28], v[31:32], -v[59:60]
	v_add_f64 v[37:38], v[16:17], v[11:12]
	v_add_f64 v[16:17], v[16:17], -v[11:12]
	v_add_f64 v[11:12], v[25:26], v[45:46]
	ds_write2_b64 v13, v[47:48], v[61:62] offset1:168
	v_add_f64 v[57:58], v[33:34], v[41:42]
	v_add_f64 v[31:32], v[33:34], -v[41:42]
	v_add_f64 v[33:34], v[45:46], v[35:36]
	v_add_f64 v[41:42], v[14:15], v[20:21]
	;; [unrolled: 1-line block ×3, first 2 shown]
	v_add_nc_u32_e32 v47, 0x1400, v13
	v_mul_hi_u32 v48, 0x30c30c4, v67
	ds_write2_b64 v47, v[27:28], v[22:23] offset0:32 offset1:200
	v_add3_u32 v22, 0, v0, v56
	v_fma_f64 v[24:25], v[33:34], -0.5, v[25:26]
	v_add_f64 v[33:34], v[9:10], -v[1:2]
	v_fma_f64 v[41:42], v[41:42], -0.5, v[87:88]
	v_add_nc_u32_e32 v26, 0x800, v13
	ds_write2_b64 v26, v[75:76], v[7:8] offset0:80 offset1:248
	v_mul_u32_u24_e32 v8, 0x60, v69
	v_add3_u32 v27, 0, v8, v56
	v_mul_lo_u32 v56, 0x54, v49
	v_fma_f64 v[39:40], v[33:34], s[2:3], v[24:25]
	v_fma_f64 v[24:25], v[33:34], s[0:1], v[24:25]
	v_add_f64 v[33:34], v[53:54], v[9:10]
	v_add_f64 v[33:34], v[33:34], v[1:2]
	;; [unrolled: 1-line block ×3, first 2 shown]
	v_add_f64 v[9:10], v[45:46], -v[35:36]
	v_add_f64 v[45:46], v[18:19], -v[5:6]
	v_fma_f64 v[1:2], v[1:2], -0.5, v[53:54]
	v_fma_f64 v[53:54], v[45:46], s[2:3], v[41:42]
	v_fma_f64 v[41:42], v[45:46], s[0:1], v[41:42]
	v_add_f64 v[45:46], v[43:44], v[18:19]
	v_fma_f64 v[35:36], v[9:10], s[0:1], v[1:2]
	v_fma_f64 v[1:2], v[9:10], s[2:3], v[1:2]
	v_add_f64 v[9:10], v[87:88], v[14:15]
	v_add_f64 v[14:15], v[14:15], -v[20:21]
	v_add_f64 v[45:46], v[45:46], v[5:6]
	v_add_f64 v[5:6], v[18:19], v[5:6]
	v_mul_f64 v[59:60], v[41:42], -0.5
	v_add_f64 v[9:10], v[9:10], v[20:21]
	v_add_f64 v[79:80], v[33:34], v[45:46]
	v_fma_f64 v[5:6], v[5:6], -0.5, v[43:44]
	v_fma_f64 v[18:19], v[14:15], s[0:1], v[5:6]
	v_fma_f64 v[5:6], v[14:15], s[2:3], v[5:6]
	v_add_f64 v[14:15], v[11:12], v[9:10]
	v_add_f64 v[9:10], v[11:12], -v[9:10]
	v_mul_f64 v[20:21], v[18:19], s[2:3]
	v_fma_f64 v[59:60], v[5:6], s[2:3], v[59:60]
	v_mul_f64 v[5:6], v[5:6], -0.5
	s_mov_b32 s3, 0x31014000
	s_mov_b32 s2, -2
	v_fma_f64 v[20:21], v[53:54], 0.5, v[20:21]
	v_mul_f64 v[53:54], v[53:54], s[0:1]
	v_fma_f64 v[5:6], v[41:42], s[0:1], v[5:6]
	v_add_f64 v[73:74], v[24:25], v[59:60]
	s_add_i32 s0, 0, 0x3f00
	s_mov_b32 s1, s15
	v_add_f64 v[43:44], v[39:40], v[20:21]
	v_fma_f64 v[18:19], v[18:19], 0.5, v[53:54]
	v_add_f64 v[11:12], v[39:40], -v[20:21]
	v_add_f64 v[20:21], v[24:25], -v[59:60]
	v_add_f64 v[41:42], v[1:2], v[5:6]
	v_add_f64 v[24:25], v[33:34], -v[45:46]
	v_add_f64 v[33:34], v[1:2], -v[5:6]
	ds_write2_b64 v22, v[14:15], v[43:44] offset1:168
	v_add_f64 v[53:54], v[35:36], v[18:19]
	v_add_f64 v[18:19], v[35:36], -v[18:19]
	v_add_nc_u32_e32 v15, 0x1400, v22
	v_add_nc_u32_e32 v14, 0x800, v22
	ds_write2_b64 v15, v[11:12], v[20:21] offset0:32 offset1:200
	v_add_nc_u32_e32 v12, 0x1e00, v72
	v_add_nc_u32_e32 v20, 0x2800, v72
	;; [unrolled: 1-line block ×3, first 2 shown]
	ds_write2_b64 v14, v[73:74], v[9:10] offset0:80 offset1:248
	s_waitcnt lgkmcnt(0)
	s_barrier
	buffer_gl0_inv
	ds_read_b64 v[35:36], v72
	ds_read2_b64 v[0:3], v12 offset0:48 offset1:216
	ds_read_b64 v[39:40], v51
	ds_read_b64 v[43:44], v50
	ds_read2_b64 v[4:7], v20 offset0:64 offset1:232
	ds_read_b64 v[45:46], v27
	ds_read_b64 v[59:60], v52
	ds_read2_b64 v[8:11], v21 offset0:16 offset1:184
	ds_read_b64 v[61:62], v27 offset:2688
	s_waitcnt lgkmcnt(0)
	s_barrier
	buffer_gl0_inv
	ds_write2_b64 v13, v[77:78], v[57:58] offset1:168
	ds_write2_b64 v26, v[37:38], v[29:30] offset0:80 offset1:248
	ds_write2_b64 v47, v[31:32], v[16:17] offset0:32 offset1:200
	ds_write2_b64 v22, v[79:80], v[53:54] offset1:168
	ds_write2_b64 v14, v[41:42], v[24:25] offset0:80 offset1:248
	ds_write2_b64 v15, v[18:19], v[33:34] offset0:32 offset1:200
	v_lshlrev_b32_e32 v24, 4, v65
	s_waitcnt lgkmcnt(0)
	s_barrier
	buffer_gl0_inv
	ds_read_b64 v[28:29], v72
	ds_read2_b64 v[12:15], v12 offset0:48 offset1:216
	ds_read_b64 v[30:31], v51
	ds_read_b64 v[32:33], v50
	ds_read2_b64 v[16:19], v20 offset0:64 offset1:232
	ds_read_b64 v[37:38], v27
	ds_read_b64 v[50:51], v52
	ds_read2_b64 v[20:23], v21 offset0:16 offset1:184
	ds_read_b64 v[72:73], v27 offset:2688
	global_load_dwordx4 v[24:27], v24, s[16:17] offset:1312
	v_mul_hi_u32 v53, 0x30c30c4, v69
	v_mul_hi_u32 v52, 0x30c30c4, v64
	v_mul_lo_u32 v58, v65, v49
	s_waitcnt vmcnt(0) lgkmcnt(7)
	v_mul_f64 v[41:42], v[12:13], v[26:27]
	v_fma_f64 v[41:42], v[0:1], v[24:25], -v[41:42]
	v_mul_f64 v[0:1], v[0:1], v[26:27]
	v_add_f64 v[82:83], v[35:36], -v[41:42]
	v_fma_f64 v[12:13], v[12:13], v[24:25], v[0:1]
	v_lshlrev_b32_e32 v0, 4, v66
	global_load_dwordx4 v[24:27], v0, s[16:17] offset:1312
	v_fma_f64 v[86:87], v[35:36], 2.0, -v[82:83]
	v_add_f64 v[84:85], v[28:29], -v[12:13]
	v_fma_f64 v[88:89], v[28:29], 2.0, -v[84:85]
	s_waitcnt vmcnt(0)
	v_mul_f64 v[0:1], v[14:15], v[26:27]
	v_fma_f64 v[74:75], v[2:3], v[24:25], -v[0:1]
	v_mul_f64 v[0:1], v[2:3], v[26:27]
	v_fma_f64 v[24:25], v[14:15], v[24:25], v[0:1]
	v_lshlrev_b32_e32 v0, 4, v70
	global_load_dwordx4 v[0:3], v0, s[16:17] offset:1312
	s_waitcnt vmcnt(0) lgkmcnt(4)
	v_mul_f64 v[14:15], v[16:17], v[2:3]
	v_mul_f64 v[2:3], v[4:5], v[2:3]
	v_fma_f64 v[26:27], v[4:5], v[0:1], -v[14:15]
	v_fma_f64 v[4:5], v[16:17], v[0:1], v[2:3]
	v_mul_u32_u24_e32 v0, 0x54, v53
	v_add_f64 v[16:17], v[30:31], -v[24:25]
	v_sub_nc_u32_e32 v57, v69, v0
	v_lshlrev_b32_e32 v0, 4, v57
	global_load_dwordx4 v[0:3], v0, s[16:17] offset:1312
	v_add_f64 v[24:25], v[32:33], -v[4:5]
	v_lshrrev_b32_e32 v4, 2, v58
	v_fma_f64 v[12:13], v[30:31], 2.0, -v[16:17]
	v_and_b32_e32 v4, 0x3f0, v4
	v_add_nc_u32_e32 v4, s0, v4
	s_waitcnt vmcnt(0)
	v_mul_f64 v[14:15], v[18:19], v[2:3]
	v_mul_f64 v[2:3], v[6:7], v[2:3]
	v_fma_f64 v[76:77], v[6:7], v[0:1], -v[14:15]
	v_fma_f64 v[6:7], v[18:19], v[0:1], v[2:3]
	v_mul_u32_u24_e32 v0, 0x54, v52
	v_sub_nc_u32_e32 v55, v64, v0
	v_lshlrev_b32_e32 v0, 4, v55
	v_mul_lo_u32 v55, v55, v49
	global_load_dwordx4 v[0:3], v0, s[16:17] offset:1312
	v_add_f64 v[30:31], v[45:46], -v[76:77]
	v_mul_lo_u32 v76, v66, v49
	s_waitcnt vmcnt(0) lgkmcnt(1)
	v_mul_f64 v[14:15], v[20:21], v[2:3]
	v_mul_f64 v[2:3], v[8:9], v[2:3]
	v_fma_f64 v[78:79], v[8:9], v[0:1], -v[14:15]
	v_fma_f64 v[8:9], v[20:21], v[0:1], v[2:3]
	v_mul_u32_u24_e32 v0, 0x54, v48
	v_fma_f64 v[20:21], v[32:33], 2.0, -v[24:25]
	v_add_f64 v[32:33], v[37:38], -v[6:7]
	ds_read_b128 v[4:7], v4 offset:1024
	v_sub_nc_u32_e32 v54, v67, v0
	v_lshlrev_b32_e32 v0, 4, v54
	global_load_dwordx4 v[0:3], v0, s[16:17] offset:1312
	v_fma_f64 v[28:29], v[37:38], 2.0, -v[32:33]
	s_waitcnt vmcnt(0)
	v_mul_f64 v[14:15], v[22:23], v[2:3]
	v_mul_f64 v[2:3], v[10:11], v[2:3]
	v_fma_f64 v[80:81], v[10:11], v[0:1], -v[14:15]
	v_fma_f64 v[0:1], v[22:23], v[0:1], v[2:3]
	v_add_f64 v[22:23], v[43:44], -v[26:27]
	v_fma_f64 v[26:27], v[45:46], 2.0, -v[30:31]
	v_add_f64 v[14:15], v[39:40], -v[74:75]
	s_waitcnt lgkmcnt(1)
	v_add_f64 v[46:47], v[72:73], -v[0:1]
	v_and_b32_e32 v0, 63, v58
	v_fma_f64 v[18:19], v[43:44], 2.0, -v[22:23]
	v_fma_f64 v[10:11], v[39:40], 2.0, -v[14:15]
	v_add_f64 v[40:41], v[50:51], -v[8:9]
	v_add_f64 v[44:45], v[61:62], -v[80:81]
	v_lshl_add_u32 v0, v0, 4, 0
	v_add_f64 v[38:39], v[59:60], -v[78:79]
	ds_read_b128 v[0:3], v0 offset:16128
	v_fma_f64 v[36:37], v[50:51], 2.0, -v[40:41]
	v_fma_f64 v[42:43], v[61:62], 2.0, -v[44:45]
	v_add_nc_u32_e32 v62, v58, v56
	v_fma_f64 v[34:35], v[59:60], 2.0, -v[38:39]
	v_fma_f64 v[50:51], v[72:73], 2.0, -v[46:47]
	s_waitcnt lgkmcnt(0)
	v_mul_f64 v[8:9], v[2:3], v[6:7]
	v_fma_f64 v[8:9], v[0:1], v[4:5], -v[8:9]
	v_mul_f64 v[0:1], v[0:1], v[6:7]
	v_fma_f64 v[4:5], v[2:3], v[4:5], v[0:1]
	v_lshrrev_b32_e32 v0, 8, v58
	v_and_b32_e32 v0, 0x3f0, v0
	v_add_nc_u32_e32 v0, s0, v0
	ds_read_b128 v[0:3], v0 offset:2048
	s_waitcnt lgkmcnt(0)
	v_mul_f64 v[6:7], v[4:5], v[2:3]
	v_mul_f64 v[2:3], v[8:9], v[2:3]
	v_fma_f64 v[6:7], v[0:1], v[8:9], -v[6:7]
	v_fma_f64 v[2:3], v[0:1], v[4:5], v[2:3]
	v_lshrrev_b32_e32 v8, 2, v62
	v_and_b32_e32 v4, 63, v62
	v_and_b32_e32 v8, 0x3f0, v8
	v_lshl_add_u32 v4, v4, 4, 0
	v_add_nc_u32_e32 v8, s0, v8
	ds_read_b128 v[58:61], v8 offset:1024
	v_mul_f64 v[0:1], v[88:89], v[2:3]
	v_mul_f64 v[2:3], v[86:87], v[2:3]
	v_fma_f64 v[0:1], v[86:87], v[6:7], -v[0:1]
	v_fma_f64 v[2:3], v[88:89], v[6:7], v[2:3]
	ds_read_b128 v[4:7], v4 offset:16128
	s_waitcnt lgkmcnt(0)
	v_mul_f64 v[8:9], v[6:7], v[60:61]
	v_fma_f64 v[8:9], v[4:5], v[58:59], -v[8:9]
	v_mul_f64 v[4:5], v[4:5], v[60:61]
	v_fma_f64 v[58:59], v[6:7], v[58:59], v[4:5]
	v_lshrrev_b32_e32 v4, 8, v62
	v_and_b32_e32 v4, 0x3f0, v4
	v_add_nc_u32_e32 v4, s0, v4
	ds_read_b128 v[4:7], v4 offset:2048
	s_waitcnt lgkmcnt(0)
	v_mul_f64 v[60:61], v[58:59], v[6:7]
	v_mul_f64 v[6:7], v[8:9], v[6:7]
	v_fma_f64 v[60:61], v[4:5], v[8:9], -v[60:61]
	v_fma_f64 v[6:7], v[4:5], v[58:59], v[6:7]
	v_and_b32_e32 v8, 63, v76
	v_lshl_add_u32 v8, v8, 4, 0
	v_mul_f64 v[4:5], v[84:85], v[6:7]
	v_mul_f64 v[6:7], v[82:83], v[6:7]
	v_fma_f64 v[4:5], v[82:83], v[60:61], -v[4:5]
	v_fma_f64 v[6:7], v[84:85], v[60:61], v[6:7]
	ds_read_b128 v[58:61], v8 offset:16128
	v_lshrrev_b32_e32 v8, 2, v76
	v_and_b32_e32 v8, 0x3f0, v8
	v_add_nc_u32_e32 v8, s0, v8
	ds_read_b128 v[72:75], v8 offset:1024
	s_waitcnt lgkmcnt(0)
	v_mul_f64 v[8:9], v[60:61], v[74:75]
	v_fma_f64 v[8:9], v[58:59], v[72:73], -v[8:9]
	v_mul_f64 v[58:59], v[58:59], v[74:75]
	v_fma_f64 v[62:63], v[60:61], v[72:73], v[58:59]
	v_lshrrev_b32_e32 v58, 8, v76
	v_add_nc_u32_e32 v76, v76, v56
	v_and_b32_e32 v58, 0x3f0, v58
	v_add_nc_u32_e32 v58, s0, v58
	ds_read_b128 v[58:61], v58 offset:2048
	s_waitcnt lgkmcnt(0)
	v_mul_f64 v[72:73], v[62:63], v[60:61]
	v_fma_f64 v[72:73], v[58:59], v[8:9], -v[72:73]
	v_mul_f64 v[8:9], v[8:9], v[60:61]
	v_fma_f64 v[58:59], v[58:59], v[62:63], v[8:9]
	v_mul_f64 v[8:9], v[12:13], v[58:59]
	v_fma_f64 v[8:9], v[10:11], v[72:73], -v[8:9]
	v_mul_f64 v[10:11], v[10:11], v[58:59]
	v_fma_f64 v[10:11], v[12:13], v[72:73], v[10:11]
	v_and_b32_e32 v12, 63, v76
	v_lshl_add_u32 v12, v12, 4, 0
	ds_read_b128 v[58:61], v12 offset:16128
	v_lshrrev_b32_e32 v12, 2, v76
	v_and_b32_e32 v12, 0x3f0, v12
	v_add_nc_u32_e32 v12, s0, v12
	ds_read_b128 v[72:75], v12 offset:1024
	s_waitcnt lgkmcnt(0)
	v_mul_f64 v[12:13], v[60:61], v[74:75]
	v_fma_f64 v[12:13], v[58:59], v[72:73], -v[12:13]
	v_mul_f64 v[58:59], v[58:59], v[74:75]
	v_fma_f64 v[62:63], v[60:61], v[72:73], v[58:59]
	v_lshrrev_b32_e32 v58, 8, v76
	v_mul_lo_u32 v76, v70, v49
	v_and_b32_e32 v58, 0x3f0, v58
	v_add_nc_u32_e32 v58, s0, v58
	ds_read_b128 v[58:61], v58 offset:2048
	s_waitcnt lgkmcnt(0)
	v_mul_f64 v[72:73], v[62:63], v[60:61]
	v_fma_f64 v[72:73], v[58:59], v[12:13], -v[72:73]
	v_mul_f64 v[12:13], v[12:13], v[60:61]
	v_fma_f64 v[58:59], v[58:59], v[62:63], v[12:13]
	v_mul_f64 v[12:13], v[16:17], v[58:59]
	v_fma_f64 v[12:13], v[14:15], v[72:73], -v[12:13]
	v_mul_f64 v[14:15], v[14:15], v[58:59]
	v_fma_f64 v[14:15], v[16:17], v[72:73], v[14:15]
	v_and_b32_e32 v16, 63, v76
	v_lshl_add_u32 v16, v16, 4, 0
	ds_read_b128 v[58:61], v16 offset:16128
	v_lshrrev_b32_e32 v16, 2, v76
	v_and_b32_e32 v16, 0x3f0, v16
	v_add_nc_u32_e32 v16, s0, v16
	ds_read_b128 v[72:75], v16 offset:1024
	s_waitcnt lgkmcnt(0)
	v_mul_f64 v[16:17], v[60:61], v[74:75]
	v_fma_f64 v[16:17], v[58:59], v[72:73], -v[16:17]
	v_mul_f64 v[58:59], v[58:59], v[74:75]
	v_fma_f64 v[62:63], v[60:61], v[72:73], v[58:59]
	v_lshrrev_b32_e32 v58, 8, v76
	v_add_nc_u32_e32 v76, v76, v56
	v_and_b32_e32 v58, 0x3f0, v58
	v_add_nc_u32_e32 v58, s0, v58
	ds_read_b128 v[58:61], v58 offset:2048
	s_waitcnt lgkmcnt(0)
	v_mul_f64 v[72:73], v[62:63], v[60:61]
	v_fma_f64 v[72:73], v[58:59], v[16:17], -v[72:73]
	v_mul_f64 v[16:17], v[16:17], v[60:61]
	v_fma_f64 v[58:59], v[58:59], v[62:63], v[16:17]
	v_mul_f64 v[16:17], v[20:21], v[58:59]
	v_fma_f64 v[16:17], v[18:19], v[72:73], -v[16:17]
	v_mul_f64 v[18:19], v[18:19], v[58:59]
	v_fma_f64 v[18:19], v[20:21], v[72:73], v[18:19]
	v_and_b32_e32 v20, 63, v76
	v_lshl_add_u32 v20, v20, 4, 0
	ds_read_b128 v[58:61], v20 offset:16128
	v_lshrrev_b32_e32 v20, 2, v76
	v_and_b32_e32 v20, 0x3f0, v20
	v_add_nc_u32_e32 v20, s0, v20
	ds_read_b128 v[72:75], v20 offset:1024
	s_waitcnt lgkmcnt(0)
	v_mul_f64 v[20:21], v[60:61], v[74:75]
	v_fma_f64 v[20:21], v[58:59], v[72:73], -v[20:21]
	v_mul_f64 v[58:59], v[58:59], v[74:75]
	v_fma_f64 v[62:63], v[60:61], v[72:73], v[58:59]
	v_lshrrev_b32_e32 v58, 8, v76
	v_and_b32_e32 v58, 0x3f0, v58
	v_add_nc_u32_e32 v58, s0, v58
	ds_read_b128 v[58:61], v58 offset:2048
	s_waitcnt lgkmcnt(0)
	v_mul_f64 v[72:73], v[62:63], v[60:61]
	v_fma_f64 v[72:73], v[58:59], v[20:21], -v[72:73]
	v_mul_f64 v[20:21], v[20:21], v[60:61]
	v_fma_f64 v[58:59], v[58:59], v[62:63], v[20:21]
	v_mul_lo_u32 v63, v57, v49
	v_mul_lo_u32 v49, v54, v49
	v_mul_f64 v[20:21], v[24:25], v[58:59]
	v_fma_f64 v[20:21], v[22:23], v[72:73], -v[20:21]
	v_mul_f64 v[22:23], v[22:23], v[58:59]
	v_fma_f64 v[22:23], v[24:25], v[72:73], v[22:23]
	v_and_b32_e32 v24, 63, v63
	v_lshl_add_u32 v24, v24, 4, 0
	ds_read_b128 v[57:60], v24 offset:16128
	v_lshrrev_b32_e32 v24, 2, v63
	v_and_b32_e32 v24, 0x3f0, v24
	v_add_nc_u32_e32 v24, s0, v24
	ds_read_b128 v[72:75], v24 offset:1024
	s_waitcnt lgkmcnt(0)
	v_mul_f64 v[24:25], v[59:60], v[74:75]
	v_fma_f64 v[24:25], v[57:58], v[72:73], -v[24:25]
	v_mul_f64 v[57:58], v[57:58], v[74:75]
	v_fma_f64 v[61:62], v[59:60], v[72:73], v[57:58]
	v_lshrrev_b32_e32 v57, 8, v63
	v_add_nc_u32_e32 v63, v63, v56
	v_and_b32_e32 v57, 0x3f0, v57
	v_add_nc_u32_e32 v57, s0, v57
	ds_read_b128 v[57:60], v57 offset:2048
	s_waitcnt lgkmcnt(0)
	v_mul_f64 v[72:73], v[61:62], v[59:60]
	v_fma_f64 v[72:73], v[57:58], v[24:25], -v[72:73]
	v_mul_f64 v[24:25], v[24:25], v[59:60]
	v_fma_f64 v[57:58], v[57:58], v[61:62], v[24:25]
	v_mul_f64 v[24:25], v[28:29], v[57:58]
	v_fma_f64 v[24:25], v[26:27], v[72:73], -v[24:25]
	v_mul_f64 v[26:27], v[26:27], v[57:58]
	v_fma_f64 v[26:27], v[28:29], v[72:73], v[26:27]
	v_and_b32_e32 v28, 63, v63
	v_lshl_add_u32 v28, v28, 4, 0
	ds_read_b128 v[57:60], v28 offset:16128
	v_lshrrev_b32_e32 v28, 2, v63
	v_and_b32_e32 v28, 0x3f0, v28
	v_add_nc_u32_e32 v28, s0, v28
	ds_read_b128 v[72:75], v28 offset:1024
	s_waitcnt lgkmcnt(0)
	v_mul_f64 v[28:29], v[59:60], v[74:75]
	v_fma_f64 v[28:29], v[57:58], v[72:73], -v[28:29]
	v_mul_f64 v[57:58], v[57:58], v[74:75]
	v_fma_f64 v[61:62], v[59:60], v[72:73], v[57:58]
	v_lshrrev_b32_e32 v57, 8, v63
	v_and_b32_e32 v57, 0x3f0, v57
	v_add_nc_u32_e32 v57, s0, v57
	ds_read_b128 v[57:60], v57 offset:2048
	s_waitcnt lgkmcnt(0)
	v_mul_f64 v[72:73], v[61:62], v[59:60]
	v_fma_f64 v[72:73], v[57:58], v[28:29], -v[72:73]
	v_mul_f64 v[28:29], v[28:29], v[59:60]
	v_fma_f64 v[57:58], v[57:58], v[61:62], v[28:29]
	v_mul_f64 v[28:29], v[32:33], v[57:58]
	v_fma_f64 v[28:29], v[30:31], v[72:73], -v[28:29]
	v_mul_f64 v[30:31], v[30:31], v[57:58]
	v_fma_f64 v[30:31], v[32:33], v[72:73], v[30:31]
	v_and_b32_e32 v32, 63, v55
	v_lshl_add_u32 v32, v32, 4, 0
	ds_read_b128 v[57:60], v32 offset:16128
	v_lshrrev_b32_e32 v32, 2, v55
	v_and_b32_e32 v32, 0x3f0, v32
	v_add_nc_u32_e32 v32, s0, v32
	ds_read_b128 v[72:75], v32 offset:1024
	s_waitcnt lgkmcnt(0)
	v_mul_f64 v[32:33], v[59:60], v[74:75]
	v_fma_f64 v[32:33], v[57:58], v[72:73], -v[32:33]
	v_mul_f64 v[57:58], v[57:58], v[74:75]
	v_fma_f64 v[61:62], v[59:60], v[72:73], v[57:58]
	v_lshrrev_b32_e32 v57, 8, v55
	v_add_nc_u32_e32 v55, v55, v56
	v_and_b32_e32 v57, 0x3f0, v57
	v_add_nc_u32_e32 v57, s0, v57
	ds_read_b128 v[57:60], v57 offset:2048
	s_waitcnt lgkmcnt(0)
	v_mul_f64 v[72:73], v[61:62], v[59:60]
	v_fma_f64 v[72:73], v[57:58], v[32:33], -v[72:73]
	v_mul_f64 v[32:33], v[32:33], v[59:60]
	v_fma_f64 v[57:58], v[57:58], v[61:62], v[32:33]
	v_mul_f64 v[32:33], v[36:37], v[57:58]
	v_fma_f64 v[32:33], v[34:35], v[72:73], -v[32:33]
	v_mul_f64 v[34:35], v[34:35], v[57:58]
	v_fma_f64 v[34:35], v[36:37], v[72:73], v[34:35]
	v_and_b32_e32 v36, 63, v55
	v_lshl_add_u32 v36, v36, 4, 0
	ds_read_b128 v[57:60], v36 offset:16128
	v_lshrrev_b32_e32 v36, 2, v55
	v_lshrrev_b32_e32 v55, 8, v55
	v_and_b32_e32 v36, 0x3f0, v36
	v_and_b32_e32 v55, 0x3f0, v55
	v_add_nc_u32_e32 v36, s0, v36
	v_add_nc_u32_e32 v55, s0, v55
	ds_read_b128 v[72:75], v36 offset:1024
	s_waitcnt lgkmcnt(0)
	v_mul_f64 v[36:37], v[59:60], v[74:75]
	v_fma_f64 v[36:37], v[57:58], v[72:73], -v[36:37]
	v_mul_f64 v[57:58], v[57:58], v[74:75]
	v_fma_f64 v[61:62], v[59:60], v[72:73], v[57:58]
	ds_read_b128 v[57:60], v55 offset:2048
	s_waitcnt lgkmcnt(0)
	v_mul_f64 v[72:73], v[61:62], v[59:60]
	v_fma_f64 v[72:73], v[57:58], v[36:37], -v[72:73]
	v_mul_f64 v[36:37], v[36:37], v[59:60]
	v_fma_f64 v[57:58], v[57:58], v[61:62], v[36:37]
	v_mul_f64 v[36:37], v[40:41], v[57:58]
	v_fma_f64 v[36:37], v[38:39], v[72:73], -v[36:37]
	v_mul_f64 v[38:39], v[38:39], v[57:58]
	v_fma_f64 v[38:39], v[40:41], v[72:73], v[38:39]
	v_and_b32_e32 v40, 63, v49
	v_lshl_add_u32 v40, v40, 4, 0
	ds_read_b128 v[57:60], v40 offset:16128
	v_lshrrev_b32_e32 v40, 2, v49
	v_and_b32_e32 v40, 0x3f0, v40
	v_add_nc_u32_e32 v40, s0, v40
	ds_read_b128 v[72:75], v40 offset:1024
	s_waitcnt lgkmcnt(0)
	v_mul_f64 v[40:41], v[59:60], v[74:75]
	v_mul_f64 v[54:55], v[57:58], v[74:75]
	v_fma_f64 v[40:41], v[57:58], v[72:73], -v[40:41]
	v_lshrrev_b32_e32 v57, 8, v49
	v_fma_f64 v[54:55], v[59:60], v[72:73], v[54:55]
	v_and_b32_e32 v57, 0x3f0, v57
	v_add_nc_u32_e32 v57, s0, v57
	ds_read_b128 v[57:60], v57 offset:2048
	s_waitcnt lgkmcnt(0)
	v_mul_f64 v[61:62], v[54:55], v[59:60]
	v_fma_f64 v[61:62], v[57:58], v[40:41], -v[61:62]
	v_mul_f64 v[40:41], v[40:41], v[59:60]
	v_fma_f64 v[54:55], v[57:58], v[54:55], v[40:41]
	v_mul_f64 v[40:41], v[50:51], v[54:55]
	v_fma_f64 v[40:41], v[42:43], v[61:62], -v[40:41]
	v_mul_f64 v[42:43], v[42:43], v[54:55]
	v_fma_f64 v[42:43], v[50:51], v[61:62], v[42:43]
	v_add_nc_u32_e32 v51, v49, v56
	v_and_b32_e32 v49, 63, v51
	v_lshl_add_u32 v49, v49, 4, 0
	ds_read_b128 v[54:57], v49 offset:16128
	v_lshrrev_b32_e32 v49, 2, v51
	v_lshrrev_b32_e32 v51, 8, v51
	v_and_b32_e32 v49, 0x3f0, v49
	v_and_b32_e32 v51, 0x3f0, v51
	v_add_nc_u32_e32 v49, s0, v49
	v_add_nc_u32_e32 v51, s0, v51
	s_mov_b32 s0, s14
	ds_read_b128 v[58:61], v49 offset:1024
	s_waitcnt lgkmcnt(0)
	v_mul_f64 v[49:50], v[56:57], v[60:61]
	v_fma_f64 v[49:50], v[54:55], v[58:59], -v[49:50]
	v_mul_f64 v[54:55], v[54:55], v[60:61]
	v_fma_f64 v[58:59], v[56:57], v[58:59], v[54:55]
	ds_read_b128 v[54:57], v51 offset:2048
	s_waitcnt lgkmcnt(0)
	v_mul_f64 v[60:61], v[58:59], v[56:57]
	v_fma_f64 v[60:61], v[54:55], v[49:50], -v[60:61]
	v_mul_f64 v[49:50], v[49:50], v[56:57]
	v_fma_f64 v[49:50], v[54:55], v[58:59], v[49:50]
	v_mul_f64 v[54:55], v[46:47], v[49:50]
	v_fma_f64 v[54:55], v[44:45], v[60:61], -v[54:55]
	v_mul_f64 v[44:45], v[44:45], v[49:50]
	v_fma_f64 v[56:57], v[46:47], v[60:61], v[44:45]
	v_mul_lo_u32 v44, s6, v68
	v_mul_lo_u32 v45, s4, v65
	v_add_lshl_u32 v45, v44, v45, 4
	v_cndmask_b32_e32 v45, -1, v45, vcc_lo
	buffer_store_dwordx4 v[0:3], v45, s[0:3], s5 offen
	v_mul_lo_u32 v0, s4, v71
	v_add_lshl_u32 v0, v44, v0, 4
	v_cndmask_b32_e32 v0, -1, v0, vcc_lo
	buffer_store_dwordx4 v[4:7], v0, s[0:3], s5 offen
	;; [unrolled: 4-line block ×3, first 2 shown]
	v_add_nc_u32_e32 v0, 0x54, v66
	v_mul_lo_u32 v0, s4, v0
	v_add_lshl_u32 v0, v44, v0, 4
	v_cndmask_b32_e32 v0, -1, v0, vcc_lo
	buffer_store_dwordx4 v[12:15], v0, s[0:3], s5 offen
	v_mul_lo_u32 v0, s4, v70
	v_add_lshl_u32 v0, v44, v0, 4
	v_cndmask_b32_e32 v0, -1, v0, vcc_lo
	buffer_store_dwordx4 v[16:19], v0, s[0:3], s5 offen
	v_add_nc_u32_e32 v0, 0x54, v70
	v_mul_lo_u32 v0, s4, v0
	v_add_lshl_u32 v0, v44, v0, 4
	v_cndmask_b32_e32 v0, -1, v0, vcc_lo
	buffer_store_dwordx4 v[20:23], v0, s[0:3], s5 offen
	v_mad_u32_u24 v0, 0x54, v53, v69
	v_mul_lo_u32 v1, s4, v0
	v_add_nc_u32_e32 v0, 0x54, v0
	v_mul_lo_u32 v0, s4, v0
	v_add_lshl_u32 v1, v44, v1, 4
	v_cndmask_b32_e32 v1, -1, v1, vcc_lo
	v_add_lshl_u32 v0, v44, v0, 4
	buffer_store_dwordx4 v[24:27], v1, s[0:3], s5 offen
	v_cndmask_b32_e32 v0, -1, v0, vcc_lo
	buffer_store_dwordx4 v[28:31], v0, s[0:3], s5 offen
	v_mad_u32_u24 v0, 0x54, v52, v64
	v_mul_lo_u32 v1, s4, v0
	v_add_nc_u32_e32 v0, 0x54, v0
	v_mul_lo_u32 v0, s4, v0
	v_add_lshl_u32 v1, v44, v1, 4
	v_cndmask_b32_e32 v1, -1, v1, vcc_lo
	v_add_lshl_u32 v0, v44, v0, 4
	buffer_store_dwordx4 v[32:35], v1, s[0:3], s5 offen
	;; [unrolled: 10-line block ×3, first 2 shown]
	v_cndmask_b32_e32 v0, -1, v0, vcc_lo
	buffer_store_dwordx4 v[54:57], v0, s[0:3], s5 offen
	s_endpgm
	.section	.rodata,"a",@progbits
	.p2align	6, 0x0
	.amdhsa_kernel fft_rtc_fwd_len168_factors_2_7_6_2_wgs_168_tpt_14_halfLds_dim3_dp_op_CI_CI_sbcc_twdbase6_3step_dirReg_intrinsicReadWrite
		.amdhsa_group_segment_fixed_size 0
		.amdhsa_private_segment_fixed_size 0
		.amdhsa_kernarg_size 104
		.amdhsa_user_sgpr_count 6
		.amdhsa_user_sgpr_private_segment_buffer 1
		.amdhsa_user_sgpr_dispatch_ptr 0
		.amdhsa_user_sgpr_queue_ptr 0
		.amdhsa_user_sgpr_kernarg_segment_ptr 1
		.amdhsa_user_sgpr_dispatch_id 0
		.amdhsa_user_sgpr_flat_scratch_init 0
		.amdhsa_user_sgpr_private_segment_size 0
		.amdhsa_wavefront_size32 1
		.amdhsa_uses_dynamic_stack 0
		.amdhsa_system_sgpr_private_segment_wavefront_offset 0
		.amdhsa_system_sgpr_workgroup_id_x 1
		.amdhsa_system_sgpr_workgroup_id_y 0
		.amdhsa_system_sgpr_workgroup_id_z 0
		.amdhsa_system_sgpr_workgroup_info 0
		.amdhsa_system_vgpr_workitem_id 0
		.amdhsa_next_free_vgpr 94
		.amdhsa_next_free_sgpr 40
		.amdhsa_reserve_vcc 1
		.amdhsa_reserve_flat_scratch 0
		.amdhsa_float_round_mode_32 0
		.amdhsa_float_round_mode_16_64 0
		.amdhsa_float_denorm_mode_32 3
		.amdhsa_float_denorm_mode_16_64 3
		.amdhsa_dx10_clamp 1
		.amdhsa_ieee_mode 1
		.amdhsa_fp16_overflow 0
		.amdhsa_workgroup_processor_mode 1
		.amdhsa_memory_ordered 1
		.amdhsa_forward_progress 0
		.amdhsa_shared_vgpr_count 0
		.amdhsa_exception_fp_ieee_invalid_op 0
		.amdhsa_exception_fp_denorm_src 0
		.amdhsa_exception_fp_ieee_div_zero 0
		.amdhsa_exception_fp_ieee_overflow 0
		.amdhsa_exception_fp_ieee_underflow 0
		.amdhsa_exception_fp_ieee_inexact 0
		.amdhsa_exception_int_div_zero 0
	.end_amdhsa_kernel
	.text
.Lfunc_end0:
	.size	fft_rtc_fwd_len168_factors_2_7_6_2_wgs_168_tpt_14_halfLds_dim3_dp_op_CI_CI_sbcc_twdbase6_3step_dirReg_intrinsicReadWrite, .Lfunc_end0-fft_rtc_fwd_len168_factors_2_7_6_2_wgs_168_tpt_14_halfLds_dim3_dp_op_CI_CI_sbcc_twdbase6_3step_dirReg_intrinsicReadWrite
                                        ; -- End function
	.section	.AMDGPU.csdata,"",@progbits
; Kernel info:
; codeLenInByte = 9708
; NumSgprs: 42
; NumVgprs: 94
; ScratchSize: 0
; MemoryBound: 0
; FloatMode: 240
; IeeeMode: 1
; LDSByteSize: 0 bytes/workgroup (compile time only)
; SGPRBlocks: 5
; VGPRBlocks: 11
; NumSGPRsForWavesPerEU: 42
; NumVGPRsForWavesPerEU: 94
; Occupancy: 10
; WaveLimiterHint : 0
; COMPUTE_PGM_RSRC2:SCRATCH_EN: 0
; COMPUTE_PGM_RSRC2:USER_SGPR: 6
; COMPUTE_PGM_RSRC2:TRAP_HANDLER: 0
; COMPUTE_PGM_RSRC2:TGID_X_EN: 1
; COMPUTE_PGM_RSRC2:TGID_Y_EN: 0
; COMPUTE_PGM_RSRC2:TGID_Z_EN: 0
; COMPUTE_PGM_RSRC2:TIDIG_COMP_CNT: 0
	.text
	.p2alignl 6, 3214868480
	.fill 48, 4, 3214868480
	.type	__hip_cuid_51cbd11709df46d4,@object ; @__hip_cuid_51cbd11709df46d4
	.section	.bss,"aw",@nobits
	.globl	__hip_cuid_51cbd11709df46d4
__hip_cuid_51cbd11709df46d4:
	.byte	0                               ; 0x0
	.size	__hip_cuid_51cbd11709df46d4, 1

	.ident	"AMD clang version 19.0.0git (https://github.com/RadeonOpenCompute/llvm-project roc-6.4.0 25133 c7fe45cf4b819c5991fe208aaa96edf142730f1d)"
	.section	".note.GNU-stack","",@progbits
	.addrsig
	.addrsig_sym __hip_cuid_51cbd11709df46d4
	.amdgpu_metadata
---
amdhsa.kernels:
  - .args:
      - .actual_access:  read_only
        .address_space:  global
        .offset:         0
        .size:           8
        .value_kind:     global_buffer
      - .address_space:  global
        .offset:         8
        .size:           8
        .value_kind:     global_buffer
      - .actual_access:  read_only
        .address_space:  global
        .offset:         16
        .size:           8
        .value_kind:     global_buffer
      - .actual_access:  read_only
        .address_space:  global
        .offset:         24
        .size:           8
        .value_kind:     global_buffer
      - .actual_access:  read_only
        .address_space:  global
        .offset:         32
        .size:           8
        .value_kind:     global_buffer
      - .offset:         40
        .size:           8
        .value_kind:     by_value
      - .actual_access:  read_only
        .address_space:  global
        .offset:         48
        .size:           8
        .value_kind:     global_buffer
      - .actual_access:  read_only
        .address_space:  global
        .offset:         56
        .size:           8
        .value_kind:     global_buffer
      - .offset:         64
        .size:           4
        .value_kind:     by_value
      - .actual_access:  read_only
        .address_space:  global
        .offset:         72
        .size:           8
        .value_kind:     global_buffer
      - .actual_access:  read_only
        .address_space:  global
        .offset:         80
        .size:           8
        .value_kind:     global_buffer
      - .address_space:  global
        .offset:         88
        .size:           8
        .value_kind:     global_buffer
      - .address_space:  global
        .offset:         96
        .size:           8
        .value_kind:     global_buffer
    .group_segment_fixed_size: 0
    .kernarg_segment_align: 8
    .kernarg_segment_size: 104
    .language:       OpenCL C
    .language_version:
      - 2
      - 0
    .max_flat_workgroup_size: 168
    .name:           fft_rtc_fwd_len168_factors_2_7_6_2_wgs_168_tpt_14_halfLds_dim3_dp_op_CI_CI_sbcc_twdbase6_3step_dirReg_intrinsicReadWrite
    .private_segment_fixed_size: 0
    .sgpr_count:     42
    .sgpr_spill_count: 0
    .symbol:         fft_rtc_fwd_len168_factors_2_7_6_2_wgs_168_tpt_14_halfLds_dim3_dp_op_CI_CI_sbcc_twdbase6_3step_dirReg_intrinsicReadWrite.kd
    .uniform_work_group_size: 1
    .uses_dynamic_stack: false
    .vgpr_count:     94
    .vgpr_spill_count: 0
    .wavefront_size: 32
    .workgroup_processor_mode: 1
amdhsa.target:   amdgcn-amd-amdhsa--gfx1030
amdhsa.version:
  - 1
  - 2
...

	.end_amdgpu_metadata
